;; amdgpu-corpus repo=ROCm/rocFFT kind=compiled arch=gfx1201 opt=O3
	.text
	.amdgcn_target "amdgcn-amd-amdhsa--gfx1201"
	.amdhsa_code_object_version 6
	.protected	fft_rtc_back_len2400_factors_4_10_10_6_wgs_240_tpt_240_halfLds_dp_op_CI_CI_unitstride_sbrr_C2R_dirReg ; -- Begin function fft_rtc_back_len2400_factors_4_10_10_6_wgs_240_tpt_240_halfLds_dp_op_CI_CI_unitstride_sbrr_C2R_dirReg
	.globl	fft_rtc_back_len2400_factors_4_10_10_6_wgs_240_tpt_240_halfLds_dp_op_CI_CI_unitstride_sbrr_C2R_dirReg
	.p2align	8
	.type	fft_rtc_back_len2400_factors_4_10_10_6_wgs_240_tpt_240_halfLds_dp_op_CI_CI_unitstride_sbrr_C2R_dirReg,@function
fft_rtc_back_len2400_factors_4_10_10_6_wgs_240_tpt_240_halfLds_dp_op_CI_CI_unitstride_sbrr_C2R_dirReg: ; @fft_rtc_back_len2400_factors_4_10_10_6_wgs_240_tpt_240_halfLds_dp_op_CI_CI_unitstride_sbrr_C2R_dirReg
; %bb.0:
	s_clause 0x2
	s_load_b128 s[8:11], s[0:1], 0x0
	s_load_b128 s[4:7], s[0:1], 0x58
	;; [unrolled: 1-line block ×3, first 2 shown]
	v_mul_u32_u24_e32 v1, 0x112, v0
	v_mov_b32_e32 v3, 0
	s_delay_alu instid0(VALU_DEP_2) | instskip(NEXT) | instid1(VALU_DEP_1)
	v_lshrrev_b32_e32 v1, 16, v1
	v_add_nc_u32_e32 v5, ttmp9, v1
	v_mov_b32_e32 v1, 0
	v_mov_b32_e32 v2, 0
	;; [unrolled: 1-line block ×3, first 2 shown]
	s_wait_kmcnt 0x0
	v_cmp_lt_u64_e64 s2, s[10:11], 2
	s_delay_alu instid0(VALU_DEP_1)
	s_and_b32 vcc_lo, exec_lo, s2
	s_cbranch_vccnz .LBB0_8
; %bb.1:
	s_load_b64 s[2:3], s[0:1], 0x10
	v_mov_b32_e32 v1, 0
	v_mov_b32_e32 v2, 0
	s_add_nc_u64 s[16:17], s[14:15], 8
	s_add_nc_u64 s[18:19], s[12:13], 8
	s_mov_b64 s[20:21], 1
	s_delay_alu instid0(VALU_DEP_1)
	v_dual_mov_b32 v49, v2 :: v_dual_mov_b32 v48, v1
	s_wait_kmcnt 0x0
	s_add_nc_u64 s[22:23], s[2:3], 8
	s_mov_b32 s3, 0
.LBB0_2:                                ; =>This Inner Loop Header: Depth=1
	s_load_b64 s[24:25], s[22:23], 0x0
                                        ; implicit-def: $vgpr52_vgpr53
	s_mov_b32 s2, exec_lo
	s_wait_kmcnt 0x0
	v_or_b32_e32 v4, s25, v6
	s_delay_alu instid0(VALU_DEP_1)
	v_cmpx_ne_u64_e32 0, v[3:4]
	s_wait_alu 0xfffe
	s_xor_b32 s26, exec_lo, s2
	s_cbranch_execz .LBB0_4
; %bb.3:                                ;   in Loop: Header=BB0_2 Depth=1
	s_cvt_f32_u32 s2, s24
	s_cvt_f32_u32 s27, s25
	s_sub_nc_u64 s[30:31], 0, s[24:25]
	s_wait_alu 0xfffe
	s_delay_alu instid0(SALU_CYCLE_1) | instskip(SKIP_1) | instid1(SALU_CYCLE_2)
	s_fmamk_f32 s2, s27, 0x4f800000, s2
	s_wait_alu 0xfffe
	v_s_rcp_f32 s2, s2
	s_delay_alu instid0(TRANS32_DEP_1) | instskip(SKIP_1) | instid1(SALU_CYCLE_2)
	s_mul_f32 s2, s2, 0x5f7ffffc
	s_wait_alu 0xfffe
	s_mul_f32 s27, s2, 0x2f800000
	s_wait_alu 0xfffe
	s_delay_alu instid0(SALU_CYCLE_2) | instskip(SKIP_1) | instid1(SALU_CYCLE_2)
	s_trunc_f32 s27, s27
	s_wait_alu 0xfffe
	s_fmamk_f32 s2, s27, 0xcf800000, s2
	s_cvt_u32_f32 s29, s27
	s_wait_alu 0xfffe
	s_delay_alu instid0(SALU_CYCLE_1) | instskip(SKIP_1) | instid1(SALU_CYCLE_2)
	s_cvt_u32_f32 s28, s2
	s_wait_alu 0xfffe
	s_mul_u64 s[34:35], s[30:31], s[28:29]
	s_wait_alu 0xfffe
	s_mul_hi_u32 s37, s28, s35
	s_mul_i32 s36, s28, s35
	s_mul_hi_u32 s2, s28, s34
	s_mul_i32 s33, s29, s34
	s_wait_alu 0xfffe
	s_add_nc_u64 s[36:37], s[2:3], s[36:37]
	s_mul_hi_u32 s27, s29, s34
	s_mul_hi_u32 s38, s29, s35
	s_add_co_u32 s2, s36, s33
	s_wait_alu 0xfffe
	s_add_co_ci_u32 s2, s37, s27
	s_mul_i32 s34, s29, s35
	s_add_co_ci_u32 s35, s38, 0
	s_wait_alu 0xfffe
	s_add_nc_u64 s[34:35], s[2:3], s[34:35]
	s_wait_alu 0xfffe
	v_add_co_u32 v4, s2, s28, s34
	s_delay_alu instid0(VALU_DEP_1) | instskip(SKIP_1) | instid1(VALU_DEP_1)
	s_cmp_lg_u32 s2, 0
	s_add_co_ci_u32 s29, s29, s35
	v_readfirstlane_b32 s28, v4
	s_wait_alu 0xfffe
	s_delay_alu instid0(VALU_DEP_1)
	s_mul_u64 s[30:31], s[30:31], s[28:29]
	s_wait_alu 0xfffe
	s_mul_hi_u32 s35, s28, s31
	s_mul_i32 s34, s28, s31
	s_mul_hi_u32 s2, s28, s30
	s_mul_i32 s33, s29, s30
	s_wait_alu 0xfffe
	s_add_nc_u64 s[34:35], s[2:3], s[34:35]
	s_mul_hi_u32 s27, s29, s30
	s_mul_hi_u32 s28, s29, s31
	s_wait_alu 0xfffe
	s_add_co_u32 s2, s34, s33
	s_add_co_ci_u32 s2, s35, s27
	s_mul_i32 s30, s29, s31
	s_add_co_ci_u32 s31, s28, 0
	s_wait_alu 0xfffe
	s_add_nc_u64 s[30:31], s[2:3], s[30:31]
	s_wait_alu 0xfffe
	v_add_co_u32 v4, s2, v4, s30
	s_delay_alu instid0(VALU_DEP_1) | instskip(SKIP_1) | instid1(VALU_DEP_1)
	s_cmp_lg_u32 s2, 0
	s_add_co_ci_u32 s2, s29, s31
	v_mul_hi_u32 v13, v5, v4
	s_wait_alu 0xfffe
	v_mad_co_u64_u32 v[7:8], null, v5, s2, 0
	v_mad_co_u64_u32 v[9:10], null, v6, v4, 0
	;; [unrolled: 1-line block ×3, first 2 shown]
	s_delay_alu instid0(VALU_DEP_3) | instskip(SKIP_1) | instid1(VALU_DEP_4)
	v_add_co_u32 v4, vcc_lo, v13, v7
	s_wait_alu 0xfffd
	v_add_co_ci_u32_e32 v7, vcc_lo, 0, v8, vcc_lo
	s_delay_alu instid0(VALU_DEP_2) | instskip(SKIP_1) | instid1(VALU_DEP_2)
	v_add_co_u32 v4, vcc_lo, v4, v9
	s_wait_alu 0xfffd
	v_add_co_ci_u32_e32 v4, vcc_lo, v7, v10, vcc_lo
	s_wait_alu 0xfffd
	v_add_co_ci_u32_e32 v7, vcc_lo, 0, v12, vcc_lo
	s_delay_alu instid0(VALU_DEP_2) | instskip(SKIP_1) | instid1(VALU_DEP_2)
	v_add_co_u32 v4, vcc_lo, v4, v11
	s_wait_alu 0xfffd
	v_add_co_ci_u32_e32 v9, vcc_lo, 0, v7, vcc_lo
	s_delay_alu instid0(VALU_DEP_2) | instskip(SKIP_1) | instid1(VALU_DEP_3)
	v_mul_lo_u32 v10, s25, v4
	v_mad_co_u64_u32 v[7:8], null, s24, v4, 0
	v_mul_lo_u32 v11, s24, v9
	s_delay_alu instid0(VALU_DEP_2) | instskip(NEXT) | instid1(VALU_DEP_2)
	v_sub_co_u32 v7, vcc_lo, v5, v7
	v_add3_u32 v8, v8, v11, v10
	s_delay_alu instid0(VALU_DEP_1) | instskip(SKIP_1) | instid1(VALU_DEP_1)
	v_sub_nc_u32_e32 v10, v6, v8
	s_wait_alu 0xfffd
	v_subrev_co_ci_u32_e64 v10, s2, s25, v10, vcc_lo
	v_add_co_u32 v11, s2, v4, 2
	s_wait_alu 0xf1ff
	v_add_co_ci_u32_e64 v12, s2, 0, v9, s2
	v_sub_co_u32 v13, s2, v7, s24
	v_sub_co_ci_u32_e32 v8, vcc_lo, v6, v8, vcc_lo
	s_wait_alu 0xf1ff
	v_subrev_co_ci_u32_e64 v10, s2, 0, v10, s2
	s_delay_alu instid0(VALU_DEP_3) | instskip(NEXT) | instid1(VALU_DEP_3)
	v_cmp_le_u32_e32 vcc_lo, s24, v13
	v_cmp_eq_u32_e64 s2, s25, v8
	s_wait_alu 0xfffd
	v_cndmask_b32_e64 v13, 0, -1, vcc_lo
	v_cmp_le_u32_e32 vcc_lo, s25, v10
	s_wait_alu 0xfffd
	v_cndmask_b32_e64 v14, 0, -1, vcc_lo
	v_cmp_le_u32_e32 vcc_lo, s24, v7
	;; [unrolled: 3-line block ×3, first 2 shown]
	s_wait_alu 0xfffd
	v_cndmask_b32_e64 v15, 0, -1, vcc_lo
	v_cmp_eq_u32_e32 vcc_lo, s25, v10
	s_wait_alu 0xf1ff
	s_delay_alu instid0(VALU_DEP_2)
	v_cndmask_b32_e64 v7, v15, v7, s2
	s_wait_alu 0xfffd
	v_cndmask_b32_e32 v10, v14, v13, vcc_lo
	v_add_co_u32 v13, vcc_lo, v4, 1
	s_wait_alu 0xfffd
	v_add_co_ci_u32_e32 v14, vcc_lo, 0, v9, vcc_lo
	s_delay_alu instid0(VALU_DEP_3) | instskip(SKIP_1) | instid1(VALU_DEP_2)
	v_cmp_ne_u32_e32 vcc_lo, 0, v10
	s_wait_alu 0xfffd
	v_cndmask_b32_e32 v8, v14, v12, vcc_lo
	v_cndmask_b32_e32 v10, v13, v11, vcc_lo
	v_cmp_ne_u32_e32 vcc_lo, 0, v7
	s_wait_alu 0xfffd
	s_delay_alu instid0(VALU_DEP_2)
	v_dual_cndmask_b32 v53, v9, v8 :: v_dual_cndmask_b32 v52, v4, v10
.LBB0_4:                                ;   in Loop: Header=BB0_2 Depth=1
	s_wait_alu 0xfffe
	s_and_not1_saveexec_b32 s2, s26
	s_cbranch_execz .LBB0_6
; %bb.5:                                ;   in Loop: Header=BB0_2 Depth=1
	v_cvt_f32_u32_e32 v4, s24
	s_sub_co_i32 s26, 0, s24
	v_mov_b32_e32 v53, v3
	s_delay_alu instid0(VALU_DEP_2) | instskip(NEXT) | instid1(TRANS32_DEP_1)
	v_rcp_iflag_f32_e32 v4, v4
	v_mul_f32_e32 v4, 0x4f7ffffe, v4
	s_delay_alu instid0(VALU_DEP_1) | instskip(SKIP_1) | instid1(VALU_DEP_1)
	v_cvt_u32_f32_e32 v4, v4
	s_wait_alu 0xfffe
	v_mul_lo_u32 v7, s26, v4
	s_delay_alu instid0(VALU_DEP_1) | instskip(NEXT) | instid1(VALU_DEP_1)
	v_mul_hi_u32 v7, v4, v7
	v_add_nc_u32_e32 v4, v4, v7
	s_delay_alu instid0(VALU_DEP_1) | instskip(NEXT) | instid1(VALU_DEP_1)
	v_mul_hi_u32 v4, v5, v4
	v_mul_lo_u32 v7, v4, s24
	v_add_nc_u32_e32 v8, 1, v4
	s_delay_alu instid0(VALU_DEP_2) | instskip(NEXT) | instid1(VALU_DEP_1)
	v_sub_nc_u32_e32 v7, v5, v7
	v_subrev_nc_u32_e32 v9, s24, v7
	v_cmp_le_u32_e32 vcc_lo, s24, v7
	s_wait_alu 0xfffd
	s_delay_alu instid0(VALU_DEP_2) | instskip(NEXT) | instid1(VALU_DEP_1)
	v_dual_cndmask_b32 v7, v7, v9 :: v_dual_cndmask_b32 v4, v4, v8
	v_cmp_le_u32_e32 vcc_lo, s24, v7
	s_delay_alu instid0(VALU_DEP_2) | instskip(SKIP_1) | instid1(VALU_DEP_1)
	v_add_nc_u32_e32 v8, 1, v4
	s_wait_alu 0xfffd
	v_cndmask_b32_e32 v52, v4, v8, vcc_lo
.LBB0_6:                                ;   in Loop: Header=BB0_2 Depth=1
	s_wait_alu 0xfffe
	s_or_b32 exec_lo, exec_lo, s2
	v_mul_lo_u32 v4, v53, s24
	s_delay_alu instid0(VALU_DEP_2)
	v_mul_lo_u32 v9, v52, s25
	s_load_b64 s[26:27], s[18:19], 0x0
	v_mad_co_u64_u32 v[7:8], null, v52, s24, 0
	s_load_b64 s[24:25], s[16:17], 0x0
	s_add_nc_u64 s[20:21], s[20:21], 1
	s_add_nc_u64 s[16:17], s[16:17], 8
	s_wait_alu 0xfffe
	v_cmp_ge_u64_e64 s2, s[20:21], s[10:11]
	s_add_nc_u64 s[18:19], s[18:19], 8
	s_add_nc_u64 s[22:23], s[22:23], 8
	v_add3_u32 v4, v8, v9, v4
	v_sub_co_u32 v5, vcc_lo, v5, v7
	s_wait_alu 0xfffd
	s_delay_alu instid0(VALU_DEP_2) | instskip(SKIP_2) | instid1(VALU_DEP_1)
	v_sub_co_ci_u32_e32 v4, vcc_lo, v6, v4, vcc_lo
	s_and_b32 vcc_lo, exec_lo, s2
	s_wait_kmcnt 0x0
	v_mul_lo_u32 v6, s26, v4
	v_mul_lo_u32 v7, s27, v5
	v_mad_co_u64_u32 v[1:2], null, s26, v5, v[1:2]
	v_mul_lo_u32 v4, s24, v4
	v_mul_lo_u32 v8, s25, v5
	v_mad_co_u64_u32 v[48:49], null, s24, v5, v[48:49]
	s_delay_alu instid0(VALU_DEP_4) | instskip(NEXT) | instid1(VALU_DEP_2)
	v_add3_u32 v2, v7, v2, v6
	v_add3_u32 v49, v8, v49, v4
	s_wait_alu 0xfffe
	s_cbranch_vccnz .LBB0_9
; %bb.7:                                ;   in Loop: Header=BB0_2 Depth=1
	v_dual_mov_b32 v5, v52 :: v_dual_mov_b32 v6, v53
	s_branch .LBB0_2
.LBB0_8:
	v_dual_mov_b32 v49, v2 :: v_dual_mov_b32 v48, v1
	v_dual_mov_b32 v53, v6 :: v_dual_mov_b32 v52, v5
.LBB0_9:
	s_load_b64 s[0:1], s[0:1], 0x28
	v_mul_hi_u32 v3, 0x1111112, v0
	s_lshl_b64 s[10:11], s[10:11], 3
                                        ; implicit-def: $vgpr50
	s_wait_alu 0xfffe
	s_add_nc_u64 s[2:3], s[14:15], s[10:11]
	s_wait_kmcnt 0x0
	v_cmp_gt_u64_e32 vcc_lo, s[0:1], v[52:53]
	v_cmp_le_u64_e64 s0, s[0:1], v[52:53]
	s_delay_alu instid0(VALU_DEP_1)
	s_and_saveexec_b32 s1, s0
	s_wait_alu 0xfffe
	s_xor_b32 s0, exec_lo, s1
; %bb.10:
	v_mul_u32_u24_e32 v1, 0xf0, v3
                                        ; implicit-def: $vgpr3
	s_delay_alu instid0(VALU_DEP_1)
	v_sub_nc_u32_e32 v50, v0, v1
                                        ; implicit-def: $vgpr0
                                        ; implicit-def: $vgpr1_vgpr2
; %bb.11:
	s_wait_alu 0xfffe
	s_or_saveexec_b32 s1, s0
	s_load_b64 s[2:3], s[2:3], 0x0
	s_xor_b32 exec_lo, exec_lo, s1
	s_cbranch_execz .LBB0_15
; %bb.12:
	s_add_nc_u64 s[10:11], s[12:13], s[10:11]
	v_lshlrev_b64_e32 v[1:2], 4, v[1:2]
	s_load_b64 s[10:11], s[10:11], 0x0
	s_wait_kmcnt 0x0
	v_mul_lo_u32 v6, s11, v52
	v_mul_lo_u32 v7, s10, v53
	v_mad_co_u64_u32 v[4:5], null, s10, v52, 0
	s_delay_alu instid0(VALU_DEP_1) | instskip(SKIP_1) | instid1(VALU_DEP_2)
	v_add3_u32 v5, v5, v7, v6
	v_mul_u32_u24_e32 v6, 0xf0, v3
	v_lshlrev_b64_e32 v[3:4], 4, v[4:5]
	s_delay_alu instid0(VALU_DEP_2) | instskip(NEXT) | instid1(VALU_DEP_1)
	v_sub_nc_u32_e32 v50, v0, v6
	v_lshlrev_b32_e32 v42, 4, v50
	s_delay_alu instid0(VALU_DEP_3) | instskip(SKIP_1) | instid1(VALU_DEP_4)
	v_add_co_u32 v0, s0, s4, v3
	s_wait_alu 0xf1ff
	v_add_co_ci_u32_e64 v3, s0, s5, v4, s0
	s_mov_b32 s4, exec_lo
	s_delay_alu instid0(VALU_DEP_2) | instskip(SKIP_1) | instid1(VALU_DEP_2)
	v_add_co_u32 v0, s0, v0, v1
	s_wait_alu 0xf1ff
	v_add_co_ci_u32_e64 v1, s0, v3, v2, s0
	s_delay_alu instid0(VALU_DEP_2) | instskip(SKIP_1) | instid1(VALU_DEP_2)
	v_add_co_u32 v38, s0, v0, v42
	s_wait_alu 0xf1ff
	v_add_co_ci_u32_e64 v39, s0, 0, v1, s0
	s_clause 0x9
	global_load_b128 v[2:5], v[38:39], off offset:3840
	global_load_b128 v[6:9], v[38:39], off offset:7680
	global_load_b128 v[10:13], v[38:39], off offset:11520
	global_load_b128 v[14:17], v[38:39], off offset:15360
	global_load_b128 v[18:21], v[38:39], off offset:19200
	global_load_b128 v[22:25], v[38:39], off offset:23040
	global_load_b128 v[26:29], v[38:39], off offset:26880
	global_load_b128 v[30:33], v[38:39], off offset:30720
	global_load_b128 v[34:37], v[38:39], off
	global_load_b128 v[38:41], v[38:39], off offset:34560
	v_add_nc_u32_e32 v42, 0, v42
	s_wait_loadcnt 0x9
	ds_store_b128 v42, v[2:5] offset:3840
	s_wait_loadcnt 0x8
	ds_store_b128 v42, v[6:9] offset:7680
	;; [unrolled: 2-line block ×8, first 2 shown]
	s_wait_loadcnt 0x1
	ds_store_b128 v42, v[34:37]
	s_wait_loadcnt 0x0
	ds_store_b128 v42, v[38:41] offset:34560
	v_cmpx_eq_u32_e32 0xef, v50
	s_cbranch_execz .LBB0_14
; %bb.13:
	global_load_b128 v[0:3], v[0:1], off offset:38400
	v_mov_b32_e32 v4, 0
	v_mov_b32_e32 v50, 0xef
	s_wait_loadcnt 0x0
	ds_store_b128 v4, v[0:3] offset:38400
.LBB0_14:
	s_wait_alu 0xfffe
	s_or_b32 exec_lo, exec_lo, s4
.LBB0_15:
	s_delay_alu instid0(SALU_CYCLE_1)
	s_or_b32 exec_lo, exec_lo, s1
	v_lshlrev_b32_e32 v0, 4, v50
	global_wb scope:SCOPE_SE
	s_wait_dscnt 0x0
	s_wait_kmcnt 0x0
	s_barrier_signal -1
	s_barrier_wait -1
	global_inv scope:SCOPE_SE
	v_add_nc_u32_e32 v54, 0, v0
	v_sub_nc_u32_e32 v10, 0, v0
	s_mov_b32 s1, exec_lo
                                        ; implicit-def: $vgpr4_vgpr5
	ds_load_b64 v[6:7], v54
	ds_load_b64 v[8:9], v10 offset:38400
	s_wait_dscnt 0x0
	v_add_f64_e32 v[0:1], v[6:7], v[8:9]
	v_add_f64_e64 v[2:3], v[6:7], -v[8:9]
	v_cmpx_ne_u32_e32 0, v50
	s_wait_alu 0xfffe
	s_xor_b32 s1, exec_lo, s1
	s_cbranch_execz .LBB0_17
; %bb.16:
	v_mov_b32_e32 v51, 0
	v_add_f64_e32 v[13:14], v[6:7], v[8:9]
	v_add_f64_e64 v[15:16], v[6:7], -v[8:9]
	s_delay_alu instid0(VALU_DEP_3) | instskip(NEXT) | instid1(VALU_DEP_1)
	v_lshlrev_b64_e32 v[0:1], 4, v[50:51]
	v_add_co_u32 v0, s0, s8, v0
	s_wait_alu 0xf1ff
	s_delay_alu instid0(VALU_DEP_2)
	v_add_co_ci_u32_e64 v1, s0, s9, v1, s0
	global_load_b128 v[2:5], v[0:1], off offset:38336
	ds_load_b64 v[0:1], v10 offset:38408
	ds_load_b64 v[11:12], v54 offset:8
	s_wait_dscnt 0x0
	v_add_f64_e32 v[6:7], v[0:1], v[11:12]
	v_add_f64_e64 v[0:1], v[11:12], -v[0:1]
	s_wait_loadcnt 0x0
	v_fma_f64 v[8:9], v[15:16], v[4:5], v[13:14]
	v_fma_f64 v[11:12], -v[15:16], v[4:5], v[13:14]
	s_delay_alu instid0(VALU_DEP_3) | instskip(SKIP_1) | instid1(VALU_DEP_4)
	v_fma_f64 v[13:14], v[6:7], v[4:5], -v[0:1]
	v_fma_f64 v[4:5], v[6:7], v[4:5], v[0:1]
	v_fma_f64 v[0:1], -v[6:7], v[2:3], v[8:9]
	s_delay_alu instid0(VALU_DEP_4) | instskip(NEXT) | instid1(VALU_DEP_4)
	v_fma_f64 v[6:7], v[6:7], v[2:3], v[11:12]
	v_fma_f64 v[8:9], v[15:16], v[2:3], v[13:14]
	s_delay_alu instid0(VALU_DEP_4)
	v_fma_f64 v[2:3], v[15:16], v[2:3], v[4:5]
	v_dual_mov_b32 v4, v50 :: v_dual_mov_b32 v5, v51
	ds_store_b128 v10, v[6:9] offset:38400
.LBB0_17:
	s_wait_alu 0xfffe
	s_and_not1_saveexec_b32 s0, s1
	s_cbranch_execz .LBB0_19
; %bb.18:
	v_mov_b32_e32 v8, 0
	ds_load_b128 v[4:7], v8 offset:19200
	s_wait_dscnt 0x0
	v_add_f64_e32 v[11:12], v[4:5], v[4:5]
	v_mul_f64_e32 v[13:14], -2.0, v[6:7]
	v_mov_b32_e32 v4, 0
	v_mov_b32_e32 v5, 0
	ds_store_b128 v8, v[11:14] offset:19200
.LBB0_19:
	s_wait_alu 0xfffe
	s_or_b32 exec_lo, exec_lo, s0
	v_lshlrev_b64_e32 v[4:5], 4, v[4:5]
	s_add_nc_u64 s[0:1], s[8:9], 0x95c0
	v_add_nc_u32_e32 v51, 0xf0, v50
	s_wait_alu 0xfffe
	s_delay_alu instid0(VALU_DEP_2)
	v_add_co_u32 v23, s0, s0, v4
	s_wait_alu 0xf1ff
	v_add_co_ci_u32_e64 v24, s0, s1, v5, s0
	s_mov_b32 s1, exec_lo
	s_clause 0x1
	global_load_b128 v[4:7], v[23:24], off offset:3840
	global_load_b128 v[11:14], v[23:24], off offset:7680
	ds_store_b128 v54, v[0:3]
	ds_load_b128 v[0:3], v54 offset:3840
	ds_load_b128 v[15:18], v10 offset:34560
	global_load_b128 v[19:22], v[23:24], off offset:11520
	s_wait_dscnt 0x0
	v_add_f64_e32 v[8:9], v[0:1], v[15:16]
	v_add_f64_e32 v[25:26], v[17:18], v[2:3]
	v_add_f64_e64 v[15:16], v[0:1], -v[15:16]
	v_add_f64_e64 v[0:1], v[2:3], -v[17:18]
	s_wait_loadcnt 0x2
	s_delay_alu instid0(VALU_DEP_2) | instskip(NEXT) | instid1(VALU_DEP_2)
	v_fma_f64 v[2:3], v[15:16], v[6:7], v[8:9]
	v_fma_f64 v[17:18], v[25:26], v[6:7], v[0:1]
	v_fma_f64 v[8:9], -v[15:16], v[6:7], v[8:9]
	v_fma_f64 v[27:28], v[25:26], v[6:7], -v[0:1]
	s_delay_alu instid0(VALU_DEP_4) | instskip(NEXT) | instid1(VALU_DEP_4)
	v_fma_f64 v[0:1], -v[25:26], v[4:5], v[2:3]
	v_fma_f64 v[2:3], v[15:16], v[4:5], v[17:18]
	s_delay_alu instid0(VALU_DEP_4) | instskip(NEXT) | instid1(VALU_DEP_4)
	v_fma_f64 v[6:7], v[25:26], v[4:5], v[8:9]
	v_fma_f64 v[8:9], v[15:16], v[4:5], v[27:28]
	ds_store_b128 v54, v[0:3] offset:3840
	ds_store_b128 v10, v[6:9] offset:34560
	ds_load_b128 v[0:3], v54 offset:7680
	ds_load_b128 v[4:7], v10 offset:30720
	global_load_b128 v[15:18], v[23:24], off offset:15360
	s_wait_dscnt 0x0
	v_add_f64_e32 v[8:9], v[0:1], v[4:5]
	v_add_f64_e32 v[23:24], v[6:7], v[2:3]
	v_add_f64_e64 v[25:26], v[0:1], -v[4:5]
	v_add_f64_e64 v[0:1], v[2:3], -v[6:7]
	s_wait_loadcnt 0x2
	s_delay_alu instid0(VALU_DEP_2) | instskip(NEXT) | instid1(VALU_DEP_2)
	v_fma_f64 v[2:3], v[25:26], v[13:14], v[8:9]
	v_fma_f64 v[4:5], v[23:24], v[13:14], v[0:1]
	v_fma_f64 v[6:7], -v[25:26], v[13:14], v[8:9]
	v_fma_f64 v[8:9], v[23:24], v[13:14], -v[0:1]
	s_delay_alu instid0(VALU_DEP_4) | instskip(NEXT) | instid1(VALU_DEP_4)
	v_fma_f64 v[0:1], -v[23:24], v[11:12], v[2:3]
	v_fma_f64 v[2:3], v[25:26], v[11:12], v[4:5]
	s_delay_alu instid0(VALU_DEP_4) | instskip(NEXT) | instid1(VALU_DEP_4)
	v_fma_f64 v[4:5], v[23:24], v[11:12], v[6:7]
	v_fma_f64 v[6:7], v[25:26], v[11:12], v[8:9]
	ds_store_b128 v54, v[0:3] offset:7680
	ds_store_b128 v10, v[4:7] offset:30720
	ds_load_b128 v[0:3], v54 offset:11520
	ds_load_b128 v[4:7], v10 offset:26880
	s_wait_dscnt 0x0
	v_add_f64_e32 v[8:9], v[0:1], v[4:5]
	v_add_f64_e32 v[11:12], v[6:7], v[2:3]
	v_add_f64_e64 v[13:14], v[0:1], -v[4:5]
	v_add_f64_e64 v[0:1], v[2:3], -v[6:7]
	s_wait_loadcnt 0x1
	s_delay_alu instid0(VALU_DEP_2) | instskip(NEXT) | instid1(VALU_DEP_2)
	v_fma_f64 v[2:3], v[13:14], v[21:22], v[8:9]
	v_fma_f64 v[4:5], v[11:12], v[21:22], v[0:1]
	v_fma_f64 v[6:7], -v[13:14], v[21:22], v[8:9]
	v_fma_f64 v[8:9], v[11:12], v[21:22], -v[0:1]
	s_delay_alu instid0(VALU_DEP_4) | instskip(NEXT) | instid1(VALU_DEP_4)
	v_fma_f64 v[0:1], -v[11:12], v[19:20], v[2:3]
	v_fma_f64 v[2:3], v[13:14], v[19:20], v[4:5]
	s_delay_alu instid0(VALU_DEP_4) | instskip(NEXT) | instid1(VALU_DEP_4)
	v_fma_f64 v[4:5], v[11:12], v[19:20], v[6:7]
	v_fma_f64 v[6:7], v[13:14], v[19:20], v[8:9]
	ds_store_b128 v54, v[0:3] offset:11520
	ds_store_b128 v10, v[4:7] offset:26880
	ds_load_b128 v[0:3], v54 offset:15360
	ds_load_b128 v[4:7], v10 offset:23040
	s_wait_dscnt 0x0
	v_add_f64_e32 v[8:9], v[0:1], v[4:5]
	v_add_f64_e32 v[11:12], v[6:7], v[2:3]
	v_add_f64_e64 v[13:14], v[0:1], -v[4:5]
	v_add_f64_e64 v[0:1], v[2:3], -v[6:7]
	s_wait_loadcnt 0x0
	s_delay_alu instid0(VALU_DEP_2) | instskip(NEXT) | instid1(VALU_DEP_2)
	v_fma_f64 v[2:3], v[13:14], v[17:18], v[8:9]
	v_fma_f64 v[4:5], v[11:12], v[17:18], v[0:1]
	v_fma_f64 v[6:7], -v[13:14], v[17:18], v[8:9]
	v_fma_f64 v[8:9], v[11:12], v[17:18], -v[0:1]
	s_delay_alu instid0(VALU_DEP_4) | instskip(NEXT) | instid1(VALU_DEP_4)
	v_fma_f64 v[0:1], -v[11:12], v[15:16], v[2:3]
	v_fma_f64 v[2:3], v[13:14], v[15:16], v[4:5]
	s_delay_alu instid0(VALU_DEP_4) | instskip(NEXT) | instid1(VALU_DEP_4)
	v_fma_f64 v[4:5], v[11:12], v[15:16], v[6:7]
	v_fma_f64 v[6:7], v[13:14], v[15:16], v[8:9]
	ds_store_b128 v54, v[0:3] offset:15360
	ds_store_b128 v10, v[4:7] offset:23040
	global_wb scope:SCOPE_SE
	s_wait_dscnt 0x0
	s_barrier_signal -1
	s_barrier_wait -1
	global_inv scope:SCOPE_SE
	global_wb scope:SCOPE_SE
	s_barrier_signal -1
	s_barrier_wait -1
	global_inv scope:SCOPE_SE
	ds_load_b128 v[0:3], v54
	ds_load_b128 v[4:7], v54 offset:19200
	ds_load_b128 v[8:11], v54 offset:28800
	;; [unrolled: 1-line block ×11, first 2 shown]
	global_wb scope:SCOPE_SE
	s_wait_dscnt 0x0
	s_barrier_signal -1
	s_barrier_wait -1
	global_inv scope:SCOPE_SE
	v_add_f64_e64 v[55:56], v[0:1], -v[4:5]
	v_add_f64_e64 v[6:7], v[2:3], -v[6:7]
	;; [unrolled: 1-line block ×11, first 2 shown]
	v_fma_f64 v[0:1], v[0:1], 2.0, -v[55:56]
	v_fma_f64 v[2:3], v[2:3], 2.0, -v[6:7]
	;; [unrolled: 1-line block ×8, first 2 shown]
	v_add_f64_e64 v[12:13], v[34:35], -v[42:43]
	v_add_f64_e32 v[16:17], v[55:56], v[10:11]
	v_add_f64_e64 v[18:19], v[6:7], -v[4:5]
	v_fma_f64 v[10:11], v[32:33], 2.0, -v[8:9]
	v_fma_f64 v[69:70], v[38:39], 2.0, -v[40:41]
	v_add_f64_e32 v[20:21], v[57:58], v[20:21]
	v_add_f64_e64 v[22:23], v[59:60], -v[22:23]
	v_add_f64_e32 v[4:5], v[8:9], v[40:41]
	v_add_f64_e64 v[24:25], v[0:1], -v[28:29]
	v_add_f64_e64 v[26:27], v[2:3], -v[14:15]
	;; [unrolled: 1-line block ×4, first 2 shown]
	v_fma_f64 v[14:15], v[34:35], 2.0, -v[12:13]
	v_fma_f64 v[65:66], v[36:37], 2.0, -v[67:68]
	;; [unrolled: 1-line block ×3, first 2 shown]
	v_add_f64_e64 v[6:7], v[12:13], -v[67:68]
	v_fma_f64 v[32:33], v[55:56], 2.0, -v[16:17]
	v_fma_f64 v[36:37], v[57:58], 2.0, -v[20:21]
	;; [unrolled: 1-line block ×3, first 2 shown]
	v_mad_u32_u24 v55, v50, 48, v54
	v_lshl_add_u32 v56, v51, 6, 0
	v_fma_f64 v[40:41], v[0:1], 2.0, -v[24:25]
	v_fma_f64 v[42:43], v[2:3], 2.0, -v[26:27]
	;; [unrolled: 1-line block ×4, first 2 shown]
	v_add_f64_e64 v[2:3], v[14:15], -v[69:70]
	v_add_f64_e64 v[0:1], v[10:11], -v[65:66]
	ds_store_b128 v55, v[24:27] offset:32
	ds_store_b128 v55, v[16:19] offset:48
	ds_store_b128 v55, v[40:43]
	ds_store_b128 v55, v[32:35] offset:16
	ds_store_b128 v56, v[44:47]
	ds_store_b128 v56, v[36:39] offset:16
	ds_store_b128 v56, v[28:31] offset:32
	;; [unrolled: 1-line block ×3, first 2 shown]
	v_cmpx_gt_u32_e32 0x78, v50
	s_cbranch_execz .LBB0_21
; %bb.20:
	v_fma_f64 v[16:17], v[14:15], 2.0, -v[2:3]
	v_fma_f64 v[14:15], v[10:11], 2.0, -v[0:1]
	;; [unrolled: 1-line block ×4, first 2 shown]
	v_lshl_add_u32 v8, v50, 6, 0
	ds_store_b128 v8, v[14:17] offset:30720
	ds_store_b128 v8, v[10:13] offset:30736
	;; [unrolled: 1-line block ×4, first 2 shown]
.LBB0_21:
	s_wait_alu 0xfffe
	s_or_b32 exec_lo, exec_lo, s1
	v_and_b32_e32 v8, 3, v50
	global_wb scope:SCOPE_SE
	s_wait_dscnt 0x0
	s_barrier_signal -1
	s_barrier_wait -1
	global_inv scope:SCOPE_SE
	v_mul_u32_u24_e32 v9, 9, v8
	s_mov_b32 s4, 0x134454ff
	s_mov_b32 s5, 0xbfee6f0e
	;; [unrolled: 1-line block ×3, first 2 shown]
	s_wait_alu 0xfffe
	s_mov_b32 s0, s4
	v_lshlrev_b32_e32 v41, 4, v9
	s_mov_b32 s12, 0x4755a5e
	s_mov_b32 s13, 0xbfe2cf23
	;; [unrolled: 1-line block ×4, first 2 shown]
	s_clause 0x8
	global_load_b128 v[9:12], v41, s[8:9] offset:32
	global_load_b128 v[13:16], v41, s[8:9] offset:64
	;; [unrolled: 1-line block ×4, first 2 shown]
	global_load_b128 v[25:28], v41, s[8:9]
	global_load_b128 v[29:32], v41, s[8:9] offset:16
	global_load_b128 v[33:36], v41, s[8:9] offset:48
	;; [unrolled: 1-line block ×4, first 2 shown]
	ds_load_b128 v[55:58], v54 offset:11520
	ds_load_b128 v[59:62], v54 offset:19200
	;; [unrolled: 1-line block ×7, first 2 shown]
	ds_load_b128 v[83:86], v54
	ds_load_b128 v[87:90], v54 offset:3840
	ds_load_b128 v[91:94], v54 offset:7680
	s_mov_b32 s14, 0x372fe950
	s_mov_b32 s15, 0x3fd3c6ef
	;; [unrolled: 1-line block ×7, first 2 shown]
	s_wait_alu 0xfffe
	s_mov_b32 s18, s20
	global_wb scope:SCOPE_SE
	s_wait_loadcnt_dscnt 0x0
	s_barrier_signal -1
	s_barrier_wait -1
	global_inv scope:SCOPE_SE
	v_mul_f64_e32 v[45:46], v[55:56], v[11:12]
	v_mul_f64_e32 v[95:96], v[59:60], v[15:16]
	v_mul_f64_e32 v[97:98], v[63:64], v[19:20]
	v_mul_f64_e32 v[99:100], v[67:68], v[23:24]
	v_mul_f64_e32 v[11:12], v[57:58], v[11:12]
	v_mul_f64_e32 v[15:16], v[61:62], v[15:16]
	v_mul_f64_e32 v[19:20], v[65:66], v[19:20]
	v_mul_f64_e32 v[23:24], v[69:70], v[23:24]
	v_mul_f64_e32 v[101:102], v[87:88], v[27:28]
	v_mul_f64_e32 v[27:28], v[89:90], v[27:28]
	v_fma_f64 v[45:46], v[57:58], v[9:10], -v[45:46]
	v_fma_f64 v[57:58], v[61:62], v[13:14], -v[95:96]
	;; [unrolled: 1-line block ×4, first 2 shown]
	v_mul_f64_e32 v[69:70], v[93:94], v[31:32]
	v_mul_f64_e32 v[31:32], v[91:92], v[31:32]
	v_mul_f64_e32 v[95:96], v[73:74], v[35:36]
	v_mul_f64_e32 v[97:98], v[77:78], v[39:40]
	v_mul_f64_e32 v[99:100], v[81:82], v[43:44]
	v_mul_f64_e32 v[35:36], v[71:72], v[35:36]
	v_mul_f64_e32 v[39:40], v[75:76], v[39:40]
	v_mul_f64_e32 v[43:44], v[79:80], v[43:44]
	v_fma_f64 v[9:10], v[55:56], v[9:10], v[11:12]
	v_fma_f64 v[11:12], v[59:60], v[13:14], v[15:16]
	;; [unrolled: 1-line block ×4, first 2 shown]
	v_fma_f64 v[17:18], v[89:90], v[25:26], -v[101:102]
	v_fma_f64 v[25:26], v[87:88], v[25:26], v[27:28]
	v_add_f64_e32 v[19:20], v[57:58], v[61:62]
	v_add_f64_e32 v[21:22], v[45:46], v[65:66]
	v_fma_f64 v[23:24], v[91:92], v[29:30], v[69:70]
	v_fma_f64 v[29:30], v[93:94], v[29:30], -v[31:32]
	v_fma_f64 v[31:32], v[71:72], v[33:34], v[95:96]
	v_fma_f64 v[55:56], v[75:76], v[37:38], v[97:98]
	;; [unrolled: 1-line block ×3, first 2 shown]
	v_fma_f64 v[33:34], v[73:74], v[33:34], -v[35:36]
	v_fma_f64 v[35:36], v[77:78], v[37:38], -v[39:40]
	;; [unrolled: 1-line block ×3, first 2 shown]
	v_add_f64_e64 v[73:74], v[45:46], -v[65:66]
	v_add_f64_e64 v[75:76], v[45:46], -v[57:58]
	v_add_f64_e32 v[27:28], v[11:12], v[13:14]
	v_add_f64_e32 v[39:40], v[9:10], v[15:16]
	v_add_f64_e64 v[43:44], v[9:10], -v[15:16]
	v_add_f64_e64 v[41:42], v[11:12], -v[13:14]
	;; [unrolled: 1-line block ×8, first 2 shown]
	v_fma_f64 v[19:20], v[19:20], -0.5, v[17:18]
	v_fma_f64 v[21:22], v[21:22], -0.5, v[17:18]
	v_add_f64_e32 v[93:94], v[83:84], v[23:24]
	v_add_f64_e32 v[17:18], v[17:18], v[45:46]
	;; [unrolled: 1-line block ×5, first 2 shown]
	v_add_f64_e64 v[45:46], v[13:14], -v[15:16]
	v_add_f64_e32 v[69:70], v[33:34], v[35:36]
	v_add_f64_e32 v[71:72], v[29:30], v[37:38]
	v_add_f64_e64 v[101:102], v[29:30], -v[37:38]
	v_add_f64_e64 v[103:104], v[33:34], -v[35:36]
	v_fma_f64 v[27:28], v[27:28], -0.5, v[25:26]
	v_fma_f64 v[39:40], v[39:40], -0.5, v[25:26]
	v_add_f64_e32 v[25:26], v[25:26], v[9:10]
	v_add_f64_e64 v[9:10], v[11:12], -v[9:10]
	v_add_f64_e64 v[105:106], v[23:24], -v[59:60]
	v_add_f64_e32 v[75:76], v[75:76], v[77:78]
	v_add_f64_e32 v[77:78], v[79:80], v[81:82]
	v_add_f64_e64 v[107:108], v[55:56], -v[59:60]
	v_add_f64_e64 v[109:110], v[37:38], -v[35:36]
	;; [unrolled: 1-line block ×3, first 2 shown]
	v_fma_f64 v[89:90], v[43:44], s[0:1], v[19:20]
	v_fma_f64 v[91:92], v[41:42], s[4:5], v[21:22]
	;; [unrolled: 1-line block ×4, first 2 shown]
	v_add_f64_e32 v[17:18], v[17:18], v[57:58]
	v_fma_f64 v[63:64], v[63:64], -0.5, v[83:84]
	v_fma_f64 v[67:68], v[67:68], -0.5, v[83:84]
	v_add_f64_e64 v[83:84], v[31:32], -v[55:56]
	v_fma_f64 v[69:70], v[69:70], -0.5, v[85:86]
	v_fma_f64 v[71:72], v[71:72], -0.5, v[85:86]
	v_fma_f64 v[79:80], v[73:74], s[4:5], v[27:28]
	v_fma_f64 v[27:28], v[73:74], s[0:1], v[27:28]
	;; [unrolled: 1-line block ×4, first 2 shown]
	v_add_f64_e32 v[11:12], v[25:26], v[11:12]
	v_add_f64_e32 v[25:26], v[95:96], v[97:98]
	;; [unrolled: 1-line block ×3, first 2 shown]
	v_fma_f64 v[85:86], v[41:42], s[10:11], v[89:90]
	v_fma_f64 v[89:90], v[43:44], s[10:11], v[91:92]
	;; [unrolled: 1-line block ×4, first 2 shown]
	v_add_f64_e64 v[41:42], v[23:24], -v[31:32]
	v_add_f64_e64 v[23:24], v[31:32], -v[23:24]
	;; [unrolled: 1-line block ×4, first 2 shown]
	v_add_f64_e32 v[31:32], v[93:94], v[31:32]
	v_add_f64_e32 v[33:34], v[99:100], v[33:34]
	v_add_f64_e64 v[43:44], v[59:60], -v[55:56]
	v_fma_f64 v[45:46], v[101:102], s[4:5], v[63:64]
	v_fma_f64 v[57:58], v[101:102], s[0:1], v[63:64]
	;; [unrolled: 1-line block ×12, first 2 shown]
	v_add_f64_e32 v[11:12], v[11:12], v[13:14]
	v_add_f64_e32 v[13:14], v[17:18], v[61:62]
	v_fma_f64 v[73:74], v[75:76], s[14:15], v[85:86]
	v_fma_f64 v[85:86], v[77:78], s[14:15], v[89:90]
	;; [unrolled: 1-line block ×4, first 2 shown]
	v_add_f64_e32 v[23:24], v[23:24], v[107:108]
	v_add_f64_e32 v[29:30], v[29:30], v[111:112]
	;; [unrolled: 1-line block ×6, first 2 shown]
	v_fma_f64 v[17:18], v[103:104], s[12:13], v[45:46]
	v_fma_f64 v[35:36], v[103:104], s[10:11], v[57:58]
	;; [unrolled: 1-line block ×12, first 2 shown]
	v_add_f64_e32 v[15:16], v[11:12], v[15:16]
	v_mul_f64_e32 v[39:40], s[12:13], v[73:74]
	v_mul_f64_e32 v[73:74], s[20:21], v[73:74]
	;; [unrolled: 1-line block ×8, first 2 shown]
	v_add_f64_e32 v[31:32], v[31:32], v[59:60]
	v_add_f64_e32 v[33:34], v[33:34], v[37:38]
	;; [unrolled: 1-line block ×3, first 2 shown]
	v_fma_f64 v[59:60], v[41:42], s[14:15], v[17:18]
	v_fma_f64 v[65:66], v[41:42], s[14:15], v[35:36]
	;; [unrolled: 1-line block ×16, first 2 shown]
	v_and_b32_e32 v9, 0xff, v50
	v_add_f64_e64 v[13:14], v[31:32], -v[15:16]
	v_add_f64_e32 v[11:12], v[33:34], v[37:38]
	s_delay_alu instid0(VALU_DEP_3)
	v_mul_lo_u16 v25, 0xcd, v9
	v_add_f64_e32 v[9:10], v[31:32], v[15:16]
	v_add_f64_e64 v[15:16], v[33:34], -v[37:38]
	v_add_f64_e32 v[17:18], v[59:60], v[39:40]
	v_add_f64_e32 v[19:20], v[45:46], v[69:70]
	;; [unrolled: 1-line block ×8, first 2 shown]
	v_add_f64_e64 v[38:39], v[59:60], -v[39:40]
	v_add_f64_e64 v[42:43], v[41:42], -v[43:44]
	v_add_f64_e64 v[40:41], v[45:46], -v[69:70]
	v_add_f64_e64 v[44:45], v[57:58], -v[71:72]
	v_add_f64_e64 v[55:56], v[23:24], -v[55:56]
	v_add_f64_e64 v[57:58], v[63:64], -v[21:22]
	v_lshrrev_b16 v24, 13, v25
	v_add_f64_e64 v[59:60], v[65:66], -v[67:68]
	v_add_f64_e64 v[61:62], v[61:62], -v[73:74]
	v_lshrrev_b32_e32 v22, 2, v50
	s_delay_alu instid0(VALU_DEP_4) | instskip(SKIP_1) | instid1(VALU_DEP_3)
	v_mul_lo_u16 v21, v24, 40
	v_and_b32_e32 v24, 0xffff, v24
	v_mul_u32_u24_e32 v22, 40, v22
	s_delay_alu instid0(VALU_DEP_3) | instskip(NEXT) | instid1(VALU_DEP_3)
	v_sub_nc_u16 v21, v50, v21
	v_mul_u32_u24_e32 v24, 0x1900, v24
	s_delay_alu instid0(VALU_DEP_3) | instskip(NEXT) | instid1(VALU_DEP_3)
	v_or_b32_e32 v8, v22, v8
	v_and_b32_e32 v25, 0xff, v21
	s_delay_alu instid0(VALU_DEP_2)
	v_lshl_add_u32 v8, v8, 4, 0
	ds_store_b128 v8, v[9:12]
	ds_store_b128 v8, v[17:20] offset:64
	ds_store_b128 v8, v[26:29] offset:128
	;; [unrolled: 1-line block ×9, first 2 shown]
	v_mul_u32_u24_e32 v21, 9, v25
	global_wb scope:SCOPE_SE
	s_wait_dscnt 0x0
	s_barrier_signal -1
	s_barrier_wait -1
	global_inv scope:SCOPE_SE
	v_lshlrev_b32_e32 v46, 4, v21
	s_clause 0x8
	global_load_b128 v[8:11], v46, s[8:9] offset:608
	global_load_b128 v[12:15], v46, s[8:9] offset:640
	;; [unrolled: 1-line block ×9, first 2 shown]
	ds_load_b128 v[55:58], v54 offset:11520
	ds_load_b128 v[59:62], v54 offset:19200
	;; [unrolled: 1-line block ×7, first 2 shown]
	ds_load_b128 v[83:86], v54
	ds_load_b128 v[87:90], v54 offset:3840
	ds_load_b128 v[91:94], v54 offset:7680
	v_lshlrev_b32_e32 v25, 4, v25
	global_wb scope:SCOPE_SE
	s_wait_loadcnt_dscnt 0x0
	s_barrier_signal -1
	s_barrier_wait -1
	global_inv scope:SCOPE_SE
	v_add3_u32 v24, 0, v24, v25
	v_mul_f64_e32 v[46:47], v[55:56], v[10:11]
	v_mul_f64_e32 v[95:96], v[59:60], v[14:15]
	;; [unrolled: 1-line block ×9, first 2 shown]
	v_fma_f64 v[46:47], v[57:58], v[8:9], -v[46:47]
	v_fma_f64 v[57:58], v[61:62], v[12:13], -v[95:96]
	;; [unrolled: 1-line block ×4, first 2 shown]
	v_mul_f64_e32 v[69:70], v[93:94], v[32:33]
	v_mul_f64_e32 v[32:33], v[91:92], v[32:33]
	;; [unrolled: 1-line block ×8, first 2 shown]
	v_fma_f64 v[8:9], v[55:56], v[8:9], v[10:11]
	v_mul_f64_e32 v[10:11], v[89:90], v[28:29]
	v_fma_f64 v[12:13], v[59:60], v[12:13], v[14:15]
	v_fma_f64 v[14:15], v[63:64], v[16:17], v[18:19]
	v_fma_f64 v[16:17], v[67:68], v[20:21], v[22:23]
	v_fma_f64 v[18:19], v[89:90], v[26:27], -v[101:102]
	v_add_f64_e32 v[20:21], v[57:58], v[61:62]
	v_add_f64_e32 v[22:23], v[46:47], v[65:66]
	v_fma_f64 v[28:29], v[91:92], v[30:31], v[69:70]
	v_fma_f64 v[30:31], v[93:94], v[30:31], -v[32:33]
	v_fma_f64 v[32:33], v[71:72], v[34:35], v[95:96]
	v_fma_f64 v[55:56], v[75:76], v[38:39], v[97:98]
	;; [unrolled: 1-line block ×3, first 2 shown]
	v_fma_f64 v[34:35], v[73:74], v[34:35], -v[36:37]
	v_fma_f64 v[36:37], v[77:78], v[38:39], -v[40:41]
	;; [unrolled: 1-line block ×3, first 2 shown]
	v_add_f64_e64 v[73:74], v[46:47], -v[65:66]
	v_fma_f64 v[10:11], v[87:88], v[26:27], v[10:11]
	v_add_f64_e64 v[75:76], v[46:47], -v[57:58]
	v_add_f64_e32 v[26:27], v[12:13], v[14:15]
	v_add_f64_e32 v[40:41], v[8:9], v[16:17]
	v_add_f64_e64 v[44:45], v[8:9], -v[16:17]
	v_add_f64_e64 v[42:43], v[12:13], -v[14:15]
	;; [unrolled: 1-line block ×8, first 2 shown]
	v_fma_f64 v[20:21], v[20:21], -0.5, v[18:19]
	v_fma_f64 v[22:23], v[22:23], -0.5, v[18:19]
	v_add_f64_e32 v[93:94], v[83:84], v[28:29]
	v_add_f64_e32 v[95:96], v[85:86], v[30:31]
	;; [unrolled: 1-line block ×5, first 2 shown]
	v_add_f64_e64 v[46:47], v[14:15], -v[16:17]
	v_add_f64_e32 v[69:70], v[34:35], v[36:37]
	v_add_f64_e32 v[71:72], v[30:31], v[38:39]
	v_add_f64_e64 v[101:102], v[30:31], -v[38:39]
	v_add_f64_e64 v[105:106], v[28:29], -v[59:60]
	;; [unrolled: 1-line block ×3, first 2 shown]
	v_fma_f64 v[26:27], v[26:27], -0.5, v[10:11]
	v_fma_f64 v[40:41], v[40:41], -0.5, v[10:11]
	v_add_f64_e32 v[10:11], v[10:11], v[8:9]
	v_add_f64_e64 v[8:9], v[12:13], -v[8:9]
	v_add_f64_e32 v[75:76], v[75:76], v[77:78]
	v_add_f64_e64 v[109:110], v[38:39], -v[36:37]
	;; [unrolled: 2-line block ×3, first 2 shown]
	v_add_f64_e64 v[111:112], v[36:37], -v[38:39]
	v_fma_f64 v[89:90], v[44:45], s[0:1], v[20:21]
	v_fma_f64 v[91:92], v[42:43], s[4:5], v[22:23]
	;; [unrolled: 1-line block ×4, first 2 shown]
	v_add_f64_e32 v[18:19], v[18:19], v[57:58]
	v_fma_f64 v[63:64], v[63:64], -0.5, v[83:84]
	v_fma_f64 v[67:68], v[67:68], -0.5, v[83:84]
	v_add_f64_e64 v[83:84], v[32:33], -v[55:56]
	v_fma_f64 v[69:70], v[69:70], -0.5, v[85:86]
	v_fma_f64 v[71:72], v[71:72], -0.5, v[85:86]
	v_fma_f64 v[79:80], v[73:74], s[4:5], v[26:27]
	v_fma_f64 v[26:27], v[73:74], s[0:1], v[26:27]
	;; [unrolled: 1-line block ×4, first 2 shown]
	v_add_f64_e32 v[10:11], v[10:11], v[12:13]
	v_add_f64_e32 v[12:13], v[97:98], v[99:100]
	v_add_f64_e32 v[8:9], v[8:9], v[46:47]
	v_fma_f64 v[85:86], v[42:43], s[10:11], v[89:90]
	v_fma_f64 v[89:90], v[44:45], s[10:11], v[91:92]
	;; [unrolled: 1-line block ×4, first 2 shown]
	v_add_f64_e64 v[42:43], v[28:29], -v[32:33]
	v_add_f64_e64 v[28:29], v[32:33], -v[28:29]
	;; [unrolled: 1-line block ×4, first 2 shown]
	v_add_f64_e32 v[32:33], v[93:94], v[32:33]
	v_add_f64_e32 v[34:35], v[95:96], v[34:35]
	v_add_f64_e64 v[91:92], v[59:60], -v[55:56]
	v_fma_f64 v[46:47], v[101:102], s[4:5], v[63:64]
	v_fma_f64 v[57:58], v[101:102], s[0:1], v[63:64]
	;; [unrolled: 1-line block ×12, first 2 shown]
	v_add_f64_e32 v[10:11], v[10:11], v[14:15]
	v_add_f64_e32 v[14:15], v[18:19], v[61:62]
	v_fma_f64 v[73:74], v[75:76], s[14:15], v[85:86]
	v_fma_f64 v[85:86], v[77:78], s[14:15], v[89:90]
	;; [unrolled: 1-line block ×4, first 2 shown]
	v_add_f64_e32 v[28:29], v[28:29], v[107:108]
	v_add_f64_e32 v[44:45], v[44:45], v[109:110]
	;; [unrolled: 1-line block ×6, first 2 shown]
	v_fma_f64 v[18:19], v[103:104], s[12:13], v[46:47]
	v_fma_f64 v[36:37], v[103:104], s[10:11], v[57:58]
	v_fma_f64 v[57:58], v[83:84], s[10:11], v[93:94]
	v_fma_f64 v[61:62], v[83:84], s[12:13], v[69:70]
	v_fma_f64 v[69:70], v[12:13], s[14:15], v[79:80]
	v_fma_f64 v[12:13], v[12:13], s[14:15], v[26:27]
	v_fma_f64 v[26:27], v[8:9], s[14:15], v[81:82]
	v_fma_f64 v[8:9], v[8:9], s[14:15], v[40:41]
	v_fma_f64 v[46:47], v[101:102], s[12:13], v[63:64]
	v_fma_f64 v[55:56], v[101:102], s[10:11], v[67:68]
	v_fma_f64 v[63:64], v[105:106], s[10:11], v[95:96]
	v_fma_f64 v[67:68], v[105:106], s[12:13], v[71:72]
	v_add_f64_e32 v[10:11], v[10:11], v[16:17]
	v_add_f64_e32 v[14:15], v[14:15], v[65:66]
	v_mul_f64_e32 v[40:41], s[12:13], v[73:74]
	v_mul_f64_e32 v[73:74], s[20:21], v[73:74]
	;; [unrolled: 1-line block ×8, first 2 shown]
	v_add_f64_e32 v[32:33], v[32:33], v[59:60]
	v_add_f64_e32 v[34:35], v[34:35], v[38:39]
	v_fma_f64 v[16:17], v[42:43], s[14:15], v[18:19]
	v_fma_f64 v[18:19], v[42:43], s[14:15], v[36:37]
	;; [unrolled: 1-line block ×16, first 2 shown]
	v_add_f64_e32 v[26:27], v[32:33], v[10:11]
	v_add_f64_e32 v[28:29], v[34:35], v[14:15]
	v_add_f64_e64 v[30:31], v[32:33], -v[10:11]
	v_add_f64_e64 v[32:33], v[34:35], -v[14:15]
	v_cmp_gt_u32_e64 s0, 0xa0, v50
	v_add_f64_e32 v[34:35], v[16:17], v[81:82]
	v_add_f64_e32 v[36:37], v[65:66], v[69:70]
	;; [unrolled: 1-line block ×8, first 2 shown]
	v_add_f64_e64 v[8:9], v[16:17], -v[81:82]
	v_add_f64_e64 v[10:11], v[65:66], -v[69:70]
	;; [unrolled: 1-line block ×8, first 2 shown]
	ds_store_b128 v24, v[26:29]
	ds_store_b128 v24, v[34:37] offset:640
	ds_store_b128 v24, v[38:41] offset:1280
	;; [unrolled: 1-line block ×9, first 2 shown]
	global_wb scope:SCOPE_SE
	s_wait_dscnt 0x0
	s_barrier_signal -1
	s_barrier_wait -1
	global_inv scope:SCOPE_SE
	ds_load_b128 v[24:27], v54
	ds_load_b128 v[28:31], v54 offset:6400
	ds_load_b128 v[32:35], v54 offset:12800
	;; [unrolled: 1-line block ×5, first 2 shown]
	s_and_saveexec_b32 s1, s0
	s_cbranch_execz .LBB0_23
; %bb.22:
	ds_load_b128 v[12:15], v54 offset:10240
	ds_load_b128 v[16:19], v54 offset:16640
	;; [unrolled: 1-line block ×6, first 2 shown]
.LBB0_23:
	s_wait_alu 0xfffe
	s_or_b32 exec_lo, exec_lo, s1
	v_mul_u32_u24_e32 v55, 5, v50
	s_mov_b32 s10, 0xe8584caa
	s_mov_b32 s11, 0xbfebb67a
	;; [unrolled: 1-line block ×3, first 2 shown]
	s_wait_alu 0xfffe
	s_mov_b32 s4, s10
	v_lshlrev_b32_e32 v71, 4, v55
	s_clause 0x4
	global_load_b128 v[55:58], v71, s[8:9] offset:6368
	global_load_b128 v[59:62], v71, s[8:9] offset:6400
	;; [unrolled: 1-line block ×5, first 2 shown]
	global_wb scope:SCOPE_SE
	s_wait_loadcnt_dscnt 0x0
	s_barrier_signal -1
	s_barrier_wait -1
	global_inv scope:SCOPE_SE
	v_mul_f64_e32 v[75:76], v[40:41], v[57:58]
	v_mul_f64_e32 v[77:78], v[44:45], v[61:62]
	;; [unrolled: 1-line block ×6, first 2 shown]
	v_fma_f64 v[42:43], v[42:43], v[55:56], -v[75:76]
	v_fma_f64 v[46:47], v[46:47], v[59:60], -v[77:78]
	v_mul_f64_e32 v[75:76], v[34:35], v[69:70]
	v_mul_f64_e32 v[69:70], v[32:33], v[69:70]
	v_mul_f64_e32 v[77:78], v[38:39], v[73:74]
	v_mul_f64_e32 v[73:74], v[36:37], v[73:74]
	v_fma_f64 v[40:41], v[40:41], v[55:56], v[57:58]
	v_fma_f64 v[44:45], v[44:45], v[59:60], v[61:62]
	v_fma_f64 v[30:31], v[30:31], v[63:64], -v[79:80]
	v_fma_f64 v[28:29], v[28:29], v[63:64], v[65:66]
	v_add_f64_e32 v[55:56], v[42:43], v[46:47]
	v_fma_f64 v[32:33], v[32:33], v[67:68], v[75:76]
	v_fma_f64 v[34:35], v[34:35], v[67:68], -v[69:70]
	v_fma_f64 v[36:37], v[36:37], v[71:72], v[77:78]
	v_fma_f64 v[38:39], v[38:39], v[71:72], -v[73:74]
	v_add_f64_e64 v[65:66], v[42:43], -v[46:47]
	v_add_f64_e32 v[57:58], v[40:41], v[44:45]
	v_add_f64_e64 v[59:60], v[40:41], -v[44:45]
	v_fma_f64 v[55:56], v[55:56], -0.5, v[30:31]
	v_add_f64_e32 v[30:31], v[30:31], v[42:43]
	v_add_f64_e32 v[61:62], v[32:33], v[36:37]
	;; [unrolled: 1-line block ×3, first 2 shown]
	v_add_f64_e64 v[69:70], v[34:35], -v[38:39]
	v_fma_f64 v[57:58], v[57:58], -0.5, v[28:29]
	v_add_f64_e32 v[34:35], v[26:27], v[34:35]
	v_add_f64_e32 v[28:29], v[28:29], v[40:41]
	s_wait_alu 0xfffe
	v_fma_f64 v[67:68], v[59:60], s[4:5], v[55:56]
	v_fma_f64 v[55:56], v[59:60], s[10:11], v[55:56]
	v_add_f64_e32 v[59:60], v[24:25], v[32:33]
	v_add_f64_e64 v[32:33], v[32:33], -v[36:37]
	v_fma_f64 v[24:25], v[61:62], -0.5, v[24:25]
	v_fma_f64 v[26:27], v[63:64], -0.5, v[26:27]
	v_fma_f64 v[40:41], v[65:66], s[10:11], v[57:58]
	v_fma_f64 v[42:43], v[65:66], s[4:5], v[57:58]
	v_add_f64_e32 v[34:35], v[34:35], v[38:39]
	v_add_f64_e32 v[28:29], v[28:29], v[44:45]
	;; [unrolled: 1-line block ×3, first 2 shown]
	v_mul_f64_e32 v[57:58], s[10:11], v[67:68]
	v_mul_f64_e32 v[63:64], 0.5, v[67:68]
	v_mul_f64_e32 v[61:62], s[10:11], v[55:56]
	v_mul_f64_e32 v[55:56], -0.5, v[55:56]
	v_add_f64_e32 v[36:37], v[59:60], v[36:37]
	v_fma_f64 v[44:45], v[69:70], s[10:11], v[24:25]
	v_fma_f64 v[59:60], v[32:33], s[4:5], v[26:27]
	;; [unrolled: 1-line block ×4, first 2 shown]
	v_add_f64_e32 v[26:27], v[34:35], v[30:31]
	v_add_f64_e64 v[30:31], v[34:35], -v[30:31]
	v_fma_f64 v[57:58], v[40:41], 0.5, v[57:58]
	v_fma_f64 v[63:64], v[40:41], s[4:5], v[63:64]
	v_fma_f64 v[61:62], v[42:43], -0.5, v[61:62]
	v_fma_f64 v[55:56], v[42:43], s[4:5], v[55:56]
	v_add_f64_e32 v[24:25], v[36:37], v[28:29]
	v_add_f64_e64 v[28:29], v[36:37], -v[28:29]
	v_add_f64_e32 v[32:33], v[44:45], v[57:58]
	v_add_f64_e32 v[34:35], v[59:60], v[63:64]
	;; [unrolled: 1-line block ×4, first 2 shown]
	v_add_f64_e64 v[40:41], v[44:45], -v[57:58]
	v_add_f64_e64 v[42:43], v[59:60], -v[63:64]
	;; [unrolled: 1-line block ×4, first 2 shown]
	ds_store_b128 v54, v[24:27]
	ds_store_b128 v54, v[32:35] offset:6400
	ds_store_b128 v54, v[36:39] offset:12800
	;; [unrolled: 1-line block ×5, first 2 shown]
	s_and_saveexec_b32 s1, s0
	s_cbranch_execz .LBB0_25
; %bb.24:
	v_dual_mov_b32 v25, 0 :: v_dual_add_nc_u32 v24, 0xffffff60, v50
	s_delay_alu instid0(VALU_DEP_1) | instskip(NEXT) | instid1(VALU_DEP_1)
	v_cndmask_b32_e64 v24, v24, v51, s0
	v_mul_i32_i24_e32 v24, 5, v24
	s_delay_alu instid0(VALU_DEP_1) | instskip(NEXT) | instid1(VALU_DEP_1)
	v_lshlrev_b64_e32 v[24:25], 4, v[24:25]
	v_add_co_u32 v40, s0, s8, v24
	s_wait_alu 0xf1ff
	s_delay_alu instid0(VALU_DEP_2)
	v_add_co_ci_u32_e64 v41, s0, s9, v25, s0
	s_clause 0x4
	global_load_b128 v[24:27], v[40:41], off offset:6368
	global_load_b128 v[28:31], v[40:41], off offset:6400
	global_load_b128 v[32:35], v[40:41], off offset:6336
	global_load_b128 v[36:39], v[40:41], off offset:6352
	global_load_b128 v[40:43], v[40:41], off offset:6384
	s_wait_loadcnt 0x4
	v_mul_f64_e32 v[44:45], v[20:21], v[26:27]
	s_wait_loadcnt 0x3
	v_mul_f64_e32 v[46:47], v[4:5], v[30:31]
	v_mul_f64_e32 v[26:27], v[22:23], v[26:27]
	;; [unrolled: 1-line block ×3, first 2 shown]
	s_wait_loadcnt 0x2
	v_mul_f64_e32 v[55:56], v[12:13], v[34:35]
	v_mul_f64_e32 v[34:35], v[14:15], v[34:35]
	v_fma_f64 v[22:23], v[22:23], v[24:25], -v[44:45]
	v_fma_f64 v[6:7], v[6:7], v[28:29], -v[46:47]
	s_wait_loadcnt 0x1
	v_mul_f64_e32 v[44:45], v[16:17], v[38:39]
	s_wait_loadcnt 0x0
	v_mul_f64_e32 v[46:47], v[0:1], v[42:43]
	v_mul_f64_e32 v[38:39], v[18:19], v[38:39]
	;; [unrolled: 1-line block ×3, first 2 shown]
	v_fma_f64 v[20:21], v[20:21], v[24:25], v[26:27]
	v_fma_f64 v[4:5], v[4:5], v[28:29], v[30:31]
	v_fma_f64 v[14:15], v[14:15], v[32:33], -v[55:56]
	v_fma_f64 v[12:13], v[12:13], v[32:33], v[34:35]
	v_add_f64_e32 v[24:25], v[22:23], v[6:7]
	v_fma_f64 v[18:19], v[18:19], v[36:37], -v[44:45]
	v_fma_f64 v[2:3], v[2:3], v[40:41], -v[46:47]
	v_fma_f64 v[16:17], v[16:17], v[36:37], v[38:39]
	v_fma_f64 v[0:1], v[0:1], v[40:41], v[42:43]
	v_add_f64_e64 v[32:33], v[22:23], -v[6:7]
	v_add_f64_e32 v[26:27], v[20:21], v[4:5]
	v_add_f64_e64 v[28:29], v[20:21], -v[4:5]
	v_fma_f64 v[24:25], v[24:25], -0.5, v[14:15]
	v_add_f64_e32 v[38:39], v[10:11], v[18:19]
	v_add_f64_e32 v[30:31], v[18:19], v[2:3]
	;; [unrolled: 1-line block ×4, first 2 shown]
	v_add_f64_e64 v[18:19], v[18:19], -v[2:3]
	v_fma_f64 v[26:27], v[26:27], -0.5, v[12:13]
	v_add_f64_e32 v[12:13], v[12:13], v[20:21]
	v_fma_f64 v[36:37], v[28:29], s[10:11], v[24:25]
	v_fma_f64 v[24:25], v[28:29], s[4:5], v[24:25]
	v_add_f64_e64 v[28:29], v[16:17], -v[0:1]
	v_add_f64_e32 v[16:17], v[8:9], v[16:17]
	v_fma_f64 v[10:11], v[30:31], -0.5, v[10:11]
	v_fma_f64 v[8:9], v[34:35], -0.5, v[8:9]
	v_fma_f64 v[22:23], v[32:33], s[10:11], v[26:27]
	v_fma_f64 v[20:21], v[32:33], s[4:5], v[26:27]
	v_add_f64_e32 v[34:35], v[38:39], v[2:3]
	v_add_f64_e32 v[6:7], v[14:15], v[6:7]
	;; [unrolled: 1-line block ×3, first 2 shown]
	v_mul_f64_e32 v[26:27], -0.5, v[36:37]
	v_mul_f64_e32 v[30:31], 0.5, v[24:25]
	v_mul_f64_e32 v[24:25], s[10:11], v[24:25]
	v_mul_f64_e32 v[32:33], s[10:11], v[36:37]
	v_add_f64_e32 v[14:15], v[16:17], v[0:1]
	v_fma_f64 v[36:37], v[28:29], s[10:11], v[10:11]
	v_fma_f64 v[16:17], v[28:29], s[4:5], v[10:11]
	;; [unrolled: 1-line block ×4, first 2 shown]
	v_add_f64_e64 v[2:3], v[34:35], -v[6:7]
	v_add_f64_e32 v[6:7], v[34:35], v[6:7]
	v_fma_f64 v[26:27], v[20:21], s[4:5], v[26:27]
	v_fma_f64 v[18:19], v[22:23], s[4:5], v[30:31]
	v_fma_f64 v[22:23], v[22:23], 0.5, v[24:25]
	v_fma_f64 v[20:21], v[20:21], -0.5, v[32:33]
	v_add_f64_e64 v[0:1], v[14:15], -v[4:5]
	v_add_f64_e32 v[4:5], v[14:15], v[4:5]
	v_add_f64_e32 v[10:11], v[36:37], v[26:27]
	;; [unrolled: 1-line block ×5, first 2 shown]
	v_add_f64_e64 v[18:19], v[16:17], -v[18:19]
	v_add_f64_e64 v[16:17], v[38:39], -v[22:23]
	;; [unrolled: 1-line block ×4, first 2 shown]
	ds_store_b128 v54, v[12:15] offset:10240
	ds_store_b128 v54, v[8:11] offset:16640
	;; [unrolled: 1-line block ×6, first 2 shown]
.LBB0_25:
	s_wait_alu 0xfffe
	s_or_b32 exec_lo, exec_lo, s1
	global_wb scope:SCOPE_SE
	s_wait_dscnt 0x0
	s_barrier_signal -1
	s_barrier_wait -1
	global_inv scope:SCOPE_SE
	s_and_saveexec_b32 s0, vcc_lo
	s_cbranch_execz .LBB0_27
; %bb.26:
	v_mul_lo_u32 v2, s3, v52
	v_mul_lo_u32 v3, s2, v53
	v_mad_co_u64_u32 v[0:1], null, s2, v52, 0
	v_dual_mov_b32 v51, 0 :: v_dual_add_nc_u32 v10, 0xf0, v50
	v_lshl_add_u32 v34, v50, 4, 0
	v_lshlrev_b64_e32 v[8:9], 4, v[48:49]
	s_delay_alu instid0(VALU_DEP_3)
	v_dual_mov_b32 v11, v51 :: v_dual_add_nc_u32 v12, 0x1e0, v50
	v_add3_u32 v1, v1, v3, v2
	v_lshlrev_b64_e32 v[15:16], 4, v[50:51]
	v_mov_b32_e32 v29, v51
	ds_load_b128 v[4:7], v34 offset:3840
	v_mov_b32_e32 v27, v51
	v_lshlrev_b64_e32 v[13:14], 4, v[0:1]
	ds_load_b128 v[0:3], v34
	v_add_nc_u32_e32 v26, 0x2d0, v50
	v_add_nc_u32_e32 v28, 0x780, v50
	v_add_co_u32 v17, vcc_lo, s6, v13
	s_wait_alu 0xfffd
	v_add_co_ci_u32_e32 v14, vcc_lo, s7, v14, vcc_lo
	v_mov_b32_e32 v13, v51
	s_delay_alu instid0(VALU_DEP_3) | instskip(SKIP_1) | instid1(VALU_DEP_3)
	v_add_co_u32 v36, vcc_lo, v17, v8
	s_wait_alu 0xfffd
	v_add_co_ci_u32_e32 v37, vcc_lo, v14, v9, vcc_lo
	v_lshlrev_b64_e32 v[8:9], 4, v[10:11]
	s_delay_alu instid0(VALU_DEP_3) | instskip(SKIP_1) | instid1(VALU_DEP_3)
	v_add_co_u32 v20, vcc_lo, v36, v15
	s_wait_alu 0xfffd
	v_add_co_ci_u32_e32 v21, vcc_lo, v37, v16, vcc_lo
	v_lshlrev_b64_e32 v[24:25], 4, v[12:13]
	s_delay_alu instid0(VALU_DEP_4)
	v_add_co_u32 v22, vcc_lo, v36, v8
	s_wait_alu 0xfffd
	v_add_co_ci_u32_e32 v23, vcc_lo, v37, v9, vcc_lo
	ds_load_b128 v[8:11], v34 offset:7680
	ds_load_b128 v[12:15], v34 offset:11520
	;; [unrolled: 1-line block ×3, first 2 shown]
	s_wait_dscnt 0x3
	s_clause 0x1
	global_store_b128 v[20:21], v[0:3], off
	global_store_b128 v[22:23], v[4:7], off
	v_add_nc_u32_e32 v2, 0x3c0, v50
	v_lshlrev_b64_e32 v[0:1], 4, v[26:27]
	v_add_co_u32 v4, vcc_lo, v36, v24
	s_wait_alu 0xfffd
	v_add_co_ci_u32_e32 v5, vcc_lo, v37, v25, vcc_lo
	v_dual_mov_b32 v3, v51 :: v_dual_add_nc_u32 v20, 0x4b0, v50
	s_delay_alu instid0(VALU_DEP_4)
	v_add_co_u32 v6, vcc_lo, v36, v0
	s_wait_alu 0xfffd
	v_add_co_ci_u32_e32 v7, vcc_lo, v37, v1, vcc_lo
	v_mov_b32_e32 v21, v51
	v_lshlrev_b64_e32 v[22:23], 4, v[2:3]
	ds_load_b128 v[0:3], v34 offset:15360
	s_wait_dscnt 0x3
	global_store_b128 v[4:5], v[8:11], off
	s_wait_dscnt 0x2
	global_store_b128 v[6:7], v[12:15], off
	v_dual_mov_b32 v13, v51 :: v_dual_add_nc_u32 v12, 0x5a0, v50
	v_add_nc_u32_e32 v14, 0x690, v50
	v_lshlrev_b64_e32 v[4:5], 4, v[20:21]
	v_add_co_u32 v24, vcc_lo, v36, v22
	s_delay_alu instid0(VALU_DEP_4) | instskip(SKIP_2) | instid1(VALU_DEP_4)
	v_lshlrev_b64_e32 v[12:13], 4, v[12:13]
	s_wait_alu 0xfffd
	v_add_co_ci_u32_e32 v25, vcc_lo, v37, v23, vcc_lo
	v_add_co_u32 v26, vcc_lo, v36, v4
	v_mov_b32_e32 v15, v51
	s_wait_alu 0xfffd
	v_add_co_ci_u32_e32 v27, vcc_lo, v37, v5, vcc_lo
	v_add_co_u32 v30, vcc_lo, v36, v12
	ds_load_b128 v[4:7], v34 offset:19200
	ds_load_b128 v[8:11], v34 offset:23040
	s_wait_alu 0xfffd
	v_add_co_ci_u32_e32 v31, vcc_lo, v37, v13, vcc_lo
	v_lshlrev_b64_e32 v[32:33], 4, v[14:15]
	ds_load_b128 v[12:15], v34 offset:26880
	ds_load_b128 v[20:23], v34 offset:30720
	v_add_nc_u32_e32 v50, 0x870, v50
	v_lshlrev_b64_e32 v[28:29], 4, v[28:29]
	v_add_co_u32 v32, vcc_lo, v36, v32
	s_delay_alu instid0(VALU_DEP_3) | instskip(SKIP_2) | instid1(VALU_DEP_4)
	v_lshlrev_b64_e32 v[34:35], 4, v[50:51]
	s_wait_alu 0xfffd
	v_add_co_ci_u32_e32 v33, vcc_lo, v37, v33, vcc_lo
	v_add_co_u32 v28, vcc_lo, v36, v28
	s_wait_alu 0xfffd
	v_add_co_ci_u32_e32 v29, vcc_lo, v37, v29, vcc_lo
	v_add_co_u32 v34, vcc_lo, v36, v34
	s_wait_alu 0xfffd
	v_add_co_ci_u32_e32 v35, vcc_lo, v37, v35, vcc_lo
	s_wait_dscnt 0x4
	global_store_b128 v[24:25], v[0:3], off
	s_wait_dscnt 0x3
	global_store_b128 v[26:27], v[4:7], off
	;; [unrolled: 2-line block ×4, first 2 shown]
	s_wait_dscnt 0x0
	s_clause 0x1
	global_store_b128 v[28:29], v[20:23], off
	global_store_b128 v[34:35], v[16:19], off
.LBB0_27:
	s_nop 0
	s_sendmsg sendmsg(MSG_DEALLOC_VGPRS)
	s_endpgm
	.section	.rodata,"a",@progbits
	.p2align	6, 0x0
	.amdhsa_kernel fft_rtc_back_len2400_factors_4_10_10_6_wgs_240_tpt_240_halfLds_dp_op_CI_CI_unitstride_sbrr_C2R_dirReg
		.amdhsa_group_segment_fixed_size 0
		.amdhsa_private_segment_fixed_size 0
		.amdhsa_kernarg_size 104
		.amdhsa_user_sgpr_count 2
		.amdhsa_user_sgpr_dispatch_ptr 0
		.amdhsa_user_sgpr_queue_ptr 0
		.amdhsa_user_sgpr_kernarg_segment_ptr 1
		.amdhsa_user_sgpr_dispatch_id 0
		.amdhsa_user_sgpr_private_segment_size 0
		.amdhsa_wavefront_size32 1
		.amdhsa_uses_dynamic_stack 0
		.amdhsa_enable_private_segment 0
		.amdhsa_system_sgpr_workgroup_id_x 1
		.amdhsa_system_sgpr_workgroup_id_y 0
		.amdhsa_system_sgpr_workgroup_id_z 0
		.amdhsa_system_sgpr_workgroup_info 0
		.amdhsa_system_vgpr_workitem_id 0
		.amdhsa_next_free_vgpr 113
		.amdhsa_next_free_sgpr 39
		.amdhsa_reserve_vcc 1
		.amdhsa_float_round_mode_32 0
		.amdhsa_float_round_mode_16_64 0
		.amdhsa_float_denorm_mode_32 3
		.amdhsa_float_denorm_mode_16_64 3
		.amdhsa_fp16_overflow 0
		.amdhsa_workgroup_processor_mode 1
		.amdhsa_memory_ordered 1
		.amdhsa_forward_progress 0
		.amdhsa_round_robin_scheduling 0
		.amdhsa_exception_fp_ieee_invalid_op 0
		.amdhsa_exception_fp_denorm_src 0
		.amdhsa_exception_fp_ieee_div_zero 0
		.amdhsa_exception_fp_ieee_overflow 0
		.amdhsa_exception_fp_ieee_underflow 0
		.amdhsa_exception_fp_ieee_inexact 0
		.amdhsa_exception_int_div_zero 0
	.end_amdhsa_kernel
	.text
.Lfunc_end0:
	.size	fft_rtc_back_len2400_factors_4_10_10_6_wgs_240_tpt_240_halfLds_dp_op_CI_CI_unitstride_sbrr_C2R_dirReg, .Lfunc_end0-fft_rtc_back_len2400_factors_4_10_10_6_wgs_240_tpt_240_halfLds_dp_op_CI_CI_unitstride_sbrr_C2R_dirReg
                                        ; -- End function
	.section	.AMDGPU.csdata,"",@progbits
; Kernel info:
; codeLenInByte = 8992
; NumSgprs: 41
; NumVgprs: 113
; ScratchSize: 0
; MemoryBound: 0
; FloatMode: 240
; IeeeMode: 1
; LDSByteSize: 0 bytes/workgroup (compile time only)
; SGPRBlocks: 5
; VGPRBlocks: 14
; NumSGPRsForWavesPerEU: 41
; NumVGPRsForWavesPerEU: 113
; Occupancy: 12
; WaveLimiterHint : 1
; COMPUTE_PGM_RSRC2:SCRATCH_EN: 0
; COMPUTE_PGM_RSRC2:USER_SGPR: 2
; COMPUTE_PGM_RSRC2:TRAP_HANDLER: 0
; COMPUTE_PGM_RSRC2:TGID_X_EN: 1
; COMPUTE_PGM_RSRC2:TGID_Y_EN: 0
; COMPUTE_PGM_RSRC2:TGID_Z_EN: 0
; COMPUTE_PGM_RSRC2:TIDIG_COMP_CNT: 0
	.text
	.p2alignl 7, 3214868480
	.fill 96, 4, 3214868480
	.type	__hip_cuid_5534cf6886169950,@object ; @__hip_cuid_5534cf6886169950
	.section	.bss,"aw",@nobits
	.globl	__hip_cuid_5534cf6886169950
__hip_cuid_5534cf6886169950:
	.byte	0                               ; 0x0
	.size	__hip_cuid_5534cf6886169950, 1

	.ident	"AMD clang version 19.0.0git (https://github.com/RadeonOpenCompute/llvm-project roc-6.4.0 25133 c7fe45cf4b819c5991fe208aaa96edf142730f1d)"
	.section	".note.GNU-stack","",@progbits
	.addrsig
	.addrsig_sym __hip_cuid_5534cf6886169950
	.amdgpu_metadata
---
amdhsa.kernels:
  - .args:
      - .actual_access:  read_only
        .address_space:  global
        .offset:         0
        .size:           8
        .value_kind:     global_buffer
      - .offset:         8
        .size:           8
        .value_kind:     by_value
      - .actual_access:  read_only
        .address_space:  global
        .offset:         16
        .size:           8
        .value_kind:     global_buffer
      - .actual_access:  read_only
        .address_space:  global
        .offset:         24
        .size:           8
        .value_kind:     global_buffer
      - .actual_access:  read_only
        .address_space:  global
        .offset:         32
        .size:           8
        .value_kind:     global_buffer
      - .offset:         40
        .size:           8
        .value_kind:     by_value
      - .actual_access:  read_only
        .address_space:  global
        .offset:         48
        .size:           8
        .value_kind:     global_buffer
      - .actual_access:  read_only
        .address_space:  global
        .offset:         56
        .size:           8
        .value_kind:     global_buffer
      - .offset:         64
        .size:           4
        .value_kind:     by_value
      - .actual_access:  read_only
        .address_space:  global
        .offset:         72
        .size:           8
        .value_kind:     global_buffer
      - .actual_access:  read_only
        .address_space:  global
        .offset:         80
        .size:           8
        .value_kind:     global_buffer
      - .actual_access:  read_only
        .address_space:  global
        .offset:         88
        .size:           8
        .value_kind:     global_buffer
      - .actual_access:  write_only
        .address_space:  global
        .offset:         96
        .size:           8
        .value_kind:     global_buffer
    .group_segment_fixed_size: 0
    .kernarg_segment_align: 8
    .kernarg_segment_size: 104
    .language:       OpenCL C
    .language_version:
      - 2
      - 0
    .max_flat_workgroup_size: 240
    .name:           fft_rtc_back_len2400_factors_4_10_10_6_wgs_240_tpt_240_halfLds_dp_op_CI_CI_unitstride_sbrr_C2R_dirReg
    .private_segment_fixed_size: 0
    .sgpr_count:     41
    .sgpr_spill_count: 0
    .symbol:         fft_rtc_back_len2400_factors_4_10_10_6_wgs_240_tpt_240_halfLds_dp_op_CI_CI_unitstride_sbrr_C2R_dirReg.kd
    .uniform_work_group_size: 1
    .uses_dynamic_stack: false
    .vgpr_count:     113
    .vgpr_spill_count: 0
    .wavefront_size: 32
    .workgroup_processor_mode: 1
amdhsa.target:   amdgcn-amd-amdhsa--gfx1201
amdhsa.version:
  - 1
  - 2
...

	.end_amdgpu_metadata
